;; amdgpu-corpus repo=ROCm/rocFFT kind=compiled arch=gfx906 opt=O3
	.text
	.amdgcn_target "amdgcn-amd-amdhsa--gfx906"
	.amdhsa_code_object_version 6
	.protected	fft_rtc_back_len60_factors_6_10_wgs_60_tpt_10_halfLds_sp_ip_CI_unitstride_sbrr_dirReg ; -- Begin function fft_rtc_back_len60_factors_6_10_wgs_60_tpt_10_halfLds_sp_ip_CI_unitstride_sbrr_dirReg
	.globl	fft_rtc_back_len60_factors_6_10_wgs_60_tpt_10_halfLds_sp_ip_CI_unitstride_sbrr_dirReg
	.p2align	8
	.type	fft_rtc_back_len60_factors_6_10_wgs_60_tpt_10_halfLds_sp_ip_CI_unitstride_sbrr_dirReg,@function
fft_rtc_back_len60_factors_6_10_wgs_60_tpt_10_halfLds_sp_ip_CI_unitstride_sbrr_dirReg: ; @fft_rtc_back_len60_factors_6_10_wgs_60_tpt_10_halfLds_sp_ip_CI_unitstride_sbrr_dirReg
; %bb.0:
	s_load_dwordx2 s[2:3], s[4:5], 0x50
	s_load_dwordx4 s[8:11], s[4:5], 0x0
	s_load_dwordx2 s[12:13], s[4:5], 0x18
	v_mul_u32_u24_e32 v1, 0x199a, v0
	v_lshrrev_b32_e32 v1, 16, v1
	v_mad_u64_u32 v[1:2], s[0:1], s6, 6, v[1:2]
	v_mov_b32_e32 v5, 0
	s_waitcnt lgkmcnt(0)
	v_cmp_lt_u64_e64 s[0:1], s[10:11], 2
	v_mov_b32_e32 v2, v5
	v_mov_b32_e32 v3, 0
	;; [unrolled: 1-line block ×3, first 2 shown]
	s_and_b64 vcc, exec, s[0:1]
	v_mov_b32_e32 v4, 0
	v_mov_b32_e32 v9, v1
	s_cbranch_vccnz .LBB0_8
; %bb.1:
	s_load_dwordx2 s[0:1], s[4:5], 0x10
	s_add_u32 s6, s12, 8
	s_addc_u32 s7, s13, 0
	v_mov_b32_e32 v3, 0
	v_mov_b32_e32 v8, v2
	s_waitcnt lgkmcnt(0)
	s_add_u32 s16, s0, 8
	s_mov_b64 s[14:15], 1
	v_mov_b32_e32 v4, 0
	s_addc_u32 s17, s1, 0
	v_mov_b32_e32 v7, v1
.LBB0_2:                                ; =>This Inner Loop Header: Depth=1
	s_load_dwordx2 s[18:19], s[16:17], 0x0
                                        ; implicit-def: $vgpr9_vgpr10
	s_waitcnt lgkmcnt(0)
	v_or_b32_e32 v6, s19, v8
	v_cmp_ne_u64_e32 vcc, 0, v[5:6]
	s_and_saveexec_b64 s[0:1], vcc
	s_xor_b64 s[20:21], exec, s[0:1]
	s_cbranch_execz .LBB0_4
; %bb.3:                                ;   in Loop: Header=BB0_2 Depth=1
	v_cvt_f32_u32_e32 v2, s18
	v_cvt_f32_u32_e32 v6, s19
	s_sub_u32 s0, 0, s18
	s_subb_u32 s1, 0, s19
	v_mac_f32_e32 v2, 0x4f800000, v6
	v_rcp_f32_e32 v2, v2
	v_mul_f32_e32 v2, 0x5f7ffffc, v2
	v_mul_f32_e32 v6, 0x2f800000, v2
	v_trunc_f32_e32 v6, v6
	v_mac_f32_e32 v2, 0xcf800000, v6
	v_cvt_u32_f32_e32 v6, v6
	v_cvt_u32_f32_e32 v2, v2
	v_mul_lo_u32 v9, s0, v6
	v_mul_hi_u32 v10, s0, v2
	v_mul_lo_u32 v12, s1, v2
	v_mul_lo_u32 v11, s0, v2
	v_add_u32_e32 v9, v10, v9
	v_add_u32_e32 v9, v9, v12
	v_mul_hi_u32 v10, v2, v11
	v_mul_lo_u32 v12, v2, v9
	v_mul_hi_u32 v14, v2, v9
	v_mul_hi_u32 v13, v6, v11
	v_mul_lo_u32 v11, v6, v11
	v_mul_hi_u32 v15, v6, v9
	v_add_co_u32_e32 v10, vcc, v10, v12
	v_addc_co_u32_e32 v12, vcc, 0, v14, vcc
	v_mul_lo_u32 v9, v6, v9
	v_add_co_u32_e32 v10, vcc, v10, v11
	v_addc_co_u32_e32 v10, vcc, v12, v13, vcc
	v_addc_co_u32_e32 v11, vcc, 0, v15, vcc
	v_add_co_u32_e32 v9, vcc, v10, v9
	v_addc_co_u32_e32 v10, vcc, 0, v11, vcc
	v_add_co_u32_e32 v2, vcc, v2, v9
	v_addc_co_u32_e32 v6, vcc, v6, v10, vcc
	v_mul_lo_u32 v9, s0, v6
	v_mul_hi_u32 v10, s0, v2
	v_mul_lo_u32 v11, s1, v2
	v_mul_lo_u32 v12, s0, v2
	v_add_u32_e32 v9, v10, v9
	v_add_u32_e32 v9, v9, v11
	v_mul_lo_u32 v13, v2, v9
	v_mul_hi_u32 v14, v2, v12
	v_mul_hi_u32 v15, v2, v9
	;; [unrolled: 1-line block ×3, first 2 shown]
	v_mul_lo_u32 v12, v6, v12
	v_mul_hi_u32 v10, v6, v9
	v_add_co_u32_e32 v13, vcc, v14, v13
	v_addc_co_u32_e32 v14, vcc, 0, v15, vcc
	v_mul_lo_u32 v9, v6, v9
	v_add_co_u32_e32 v12, vcc, v13, v12
	v_addc_co_u32_e32 v11, vcc, v14, v11, vcc
	v_addc_co_u32_e32 v10, vcc, 0, v10, vcc
	v_add_co_u32_e32 v9, vcc, v11, v9
	v_addc_co_u32_e32 v10, vcc, 0, v10, vcc
	v_add_co_u32_e32 v2, vcc, v2, v9
	v_addc_co_u32_e32 v6, vcc, v6, v10, vcc
	v_mad_u64_u32 v[9:10], s[0:1], v7, v6, 0
	v_mul_hi_u32 v11, v7, v2
	v_add_co_u32_e32 v13, vcc, v11, v9
	v_addc_co_u32_e32 v14, vcc, 0, v10, vcc
	v_mad_u64_u32 v[9:10], s[0:1], v8, v2, 0
	v_mad_u64_u32 v[11:12], s[0:1], v8, v6, 0
	v_add_co_u32_e32 v2, vcc, v13, v9
	v_addc_co_u32_e32 v2, vcc, v14, v10, vcc
	v_addc_co_u32_e32 v6, vcc, 0, v12, vcc
	v_add_co_u32_e32 v2, vcc, v2, v11
	v_addc_co_u32_e32 v6, vcc, 0, v6, vcc
	v_mul_lo_u32 v11, s19, v2
	v_mul_lo_u32 v12, s18, v6
	v_mad_u64_u32 v[9:10], s[0:1], s18, v2, 0
	v_add3_u32 v10, v10, v12, v11
	v_sub_u32_e32 v11, v8, v10
	v_mov_b32_e32 v12, s19
	v_sub_co_u32_e32 v9, vcc, v7, v9
	v_subb_co_u32_e64 v11, s[0:1], v11, v12, vcc
	v_subrev_co_u32_e64 v12, s[0:1], s18, v9
	v_subbrev_co_u32_e64 v11, s[0:1], 0, v11, s[0:1]
	v_cmp_le_u32_e64 s[0:1], s19, v11
	v_cndmask_b32_e64 v13, 0, -1, s[0:1]
	v_cmp_le_u32_e64 s[0:1], s18, v12
	v_cndmask_b32_e64 v12, 0, -1, s[0:1]
	v_cmp_eq_u32_e64 s[0:1], s19, v11
	v_cndmask_b32_e64 v11, v13, v12, s[0:1]
	v_add_co_u32_e64 v12, s[0:1], 2, v2
	v_addc_co_u32_e64 v13, s[0:1], 0, v6, s[0:1]
	v_add_co_u32_e64 v14, s[0:1], 1, v2
	v_addc_co_u32_e64 v15, s[0:1], 0, v6, s[0:1]
	v_subb_co_u32_e32 v10, vcc, v8, v10, vcc
	v_cmp_ne_u32_e64 s[0:1], 0, v11
	v_cmp_le_u32_e32 vcc, s19, v10
	v_cndmask_b32_e64 v11, v15, v13, s[0:1]
	v_cndmask_b32_e64 v13, 0, -1, vcc
	v_cmp_le_u32_e32 vcc, s18, v9
	v_cndmask_b32_e64 v9, 0, -1, vcc
	v_cmp_eq_u32_e32 vcc, s19, v10
	v_cndmask_b32_e32 v9, v13, v9, vcc
	v_cmp_ne_u32_e32 vcc, 0, v9
	v_cndmask_b32_e32 v10, v6, v11, vcc
	v_cndmask_b32_e64 v6, v14, v12, s[0:1]
	v_cndmask_b32_e32 v9, v2, v6, vcc
.LBB0_4:                                ;   in Loop: Header=BB0_2 Depth=1
	s_andn2_saveexec_b64 s[0:1], s[20:21]
	s_cbranch_execz .LBB0_6
; %bb.5:                                ;   in Loop: Header=BB0_2 Depth=1
	v_cvt_f32_u32_e32 v2, s18
	s_sub_i32 s20, 0, s18
	v_rcp_iflag_f32_e32 v2, v2
	v_mul_f32_e32 v2, 0x4f7ffffe, v2
	v_cvt_u32_f32_e32 v2, v2
	v_mul_lo_u32 v6, s20, v2
	v_mul_hi_u32 v6, v2, v6
	v_add_u32_e32 v2, v2, v6
	v_mul_hi_u32 v2, v7, v2
	v_mul_lo_u32 v6, v2, s18
	v_add_u32_e32 v9, 1, v2
	v_sub_u32_e32 v6, v7, v6
	v_subrev_u32_e32 v10, s18, v6
	v_cmp_le_u32_e32 vcc, s18, v6
	v_cndmask_b32_e32 v6, v6, v10, vcc
	v_cndmask_b32_e32 v2, v2, v9, vcc
	v_add_u32_e32 v9, 1, v2
	v_cmp_le_u32_e32 vcc, s18, v6
	v_cndmask_b32_e32 v9, v2, v9, vcc
	v_mov_b32_e32 v10, v5
.LBB0_6:                                ;   in Loop: Header=BB0_2 Depth=1
	s_or_b64 exec, exec, s[0:1]
	v_mul_lo_u32 v2, v10, s18
	v_mul_lo_u32 v6, v9, s19
	v_mad_u64_u32 v[11:12], s[0:1], v9, s18, 0
	s_load_dwordx2 s[0:1], s[6:7], 0x0
	s_add_u32 s14, s14, 1
	v_add3_u32 v2, v12, v6, v2
	v_sub_co_u32_e32 v6, vcc, v7, v11
	v_subb_co_u32_e32 v2, vcc, v8, v2, vcc
	s_waitcnt lgkmcnt(0)
	v_mul_lo_u32 v2, s0, v2
	v_mul_lo_u32 v7, s1, v6
	v_mad_u64_u32 v[3:4], s[0:1], s0, v6, v[3:4]
	s_addc_u32 s15, s15, 0
	s_add_u32 s6, s6, 8
	v_add3_u32 v4, v7, v4, v2
	v_mov_b32_e32 v6, s10
	v_mov_b32_e32 v7, s11
	s_addc_u32 s7, s7, 0
	v_cmp_ge_u64_e32 vcc, s[14:15], v[6:7]
	s_add_u32 s16, s16, 8
	s_addc_u32 s17, s17, 0
	s_cbranch_vccnz .LBB0_8
; %bb.7:                                ;   in Loop: Header=BB0_2 Depth=1
	v_mov_b32_e32 v7, v9
	v_mov_b32_e32 v8, v10
	s_branch .LBB0_2
.LBB0_8:
	s_lshl_b64 s[0:1], s[10:11], 3
	s_add_u32 s0, s12, s0
	s_addc_u32 s1, s13, s1
	s_load_dwordx2 s[6:7], s[0:1], 0x0
	s_load_dwordx2 s[10:11], s[4:5], 0x20
                                        ; implicit-def: $vgpr18
                                        ; implicit-def: $vgpr22
                                        ; implicit-def: $vgpr20
                                        ; implicit-def: $vgpr7
                                        ; implicit-def: $vgpr15
	s_waitcnt lgkmcnt(0)
	v_mad_u64_u32 v[2:3], s[0:1], s6, v9, v[3:4]
	v_mul_lo_u32 v5, s6, v10
	v_mul_lo_u32 v6, s7, v9
	s_mov_b32 s0, 0x1999999a
	v_mul_hi_u32 v4, v0, s0
	v_cmp_gt_u64_e32 vcc, s[10:11], v[9:10]
	v_add3_u32 v3, v6, v3, v5
	v_lshlrev_b64 v[10:11], 3, v[2:3]
	v_mul_u32_u24_e32 v4, 10, v4
	v_sub_u32_e32 v8, v0, v4
                                        ; implicit-def: $vgpr5
	s_and_saveexec_b64 s[4:5], vcc
	s_cbranch_execz .LBB0_10
; %bb.9:
	v_mov_b32_e32 v9, 0
	v_mov_b32_e32 v0, s3
	v_add_co_u32_e64 v4, s[0:1], s2, v10
	v_lshlrev_b64 v[2:3], 3, v[8:9]
	v_addc_co_u32_e64 v0, s[0:1], v0, v11, s[0:1]
	v_add_co_u32_e64 v2, s[0:1], v4, v2
	v_addc_co_u32_e64 v3, s[0:1], v0, v3, s[0:1]
	global_load_dwordx2 v[14:15], v[2:3], off
	global_load_dwordx2 v[6:7], v[2:3], off offset:80
	global_load_dwordx2 v[19:20], v[2:3], off offset:160
	;; [unrolled: 1-line block ×5, first 2 shown]
.LBB0_10:
	s_or_b64 exec, exec, s[4:5]
	s_mov_b32 s0, 0xaaaaaaab
	v_mul_hi_u32 v0, v1, s0
	s_waitcnt vmcnt(3)
	v_add_f32_e32 v2, v19, v14
	s_waitcnt vmcnt(2)
	v_add_f32_e32 v3, v4, v6
	s_waitcnt vmcnt(1)
	v_add_f32_e32 v2, v21, v2
	v_lshrrev_b32_e32 v0, 2, v0
	v_mul_lo_u32 v9, v0, 6
	s_waitcnt vmcnt(0)
	v_add_f32_e32 v3, v17, v3
	v_add_f32_e32 v0, v3, v2
	v_sub_f32_e32 v3, v2, v3
	v_sub_u32_e32 v9, v1, v9
	v_add_f32_e32 v1, v21, v19
	v_fmac_f32_e32 v14, -0.5, v1
	v_sub_f32_e32 v1, v20, v22
	v_mov_b32_e32 v12, v14
	v_fmac_f32_e32 v12, 0xbf5db3d7, v1
	v_fmac_f32_e32 v14, 0x3f5db3d7, v1
	v_add_f32_e32 v1, v17, v4
	v_fmac_f32_e32 v6, -0.5, v1
	v_sub_f32_e32 v1, v5, v18
	v_mov_b32_e32 v26, v6
	v_fmac_f32_e32 v26, 0xbf5db3d7, v1
	v_fmac_f32_e32 v6, 0x3f5db3d7, v1
	v_add_f32_e32 v1, v18, v5
	v_fma_f32 v27, -0.5, v1, v7
	v_sub_f32_e32 v1, v4, v17
	v_mov_b32_e32 v28, v27
	v_fmac_f32_e32 v28, 0x3f5db3d7, v1
	v_mul_f32_e32 v4, 0xbf5db3d7, v28
	v_fmac_f32_e32 v27, 0xbf5db3d7, v1
	v_fmac_f32_e32 v4, 0.5, v26
	v_add_f32_e32 v1, v12, v4
	v_mul_f32_e32 v13, 0xbf5db3d7, v27
	v_sub_f32_e32 v12, v12, v4
	v_mul_u32_u24_e32 v4, 6, v8
	v_fmac_f32_e32 v13, -0.5, v6
	v_mul_u32_u24_e32 v9, 60, v9
	v_lshl_add_u32 v4, v4, 2, 0
	v_add_f32_e32 v2, v14, v13
	v_sub_f32_e32 v13, v14, v13
	v_lshl_add_u32 v25, v9, 2, v4
	v_cmp_gt_u32_e64 s[0:1], 6, v8
	v_lshlrev_b32_e32 v23, 2, v9
	v_lshlrev_b32_e32 v24, 2, v8
	ds_write2_b64 v25, v[0:1], v[2:3] offset1:1
	ds_write_b64 v25, v[12:13] offset:16
	s_waitcnt lgkmcnt(0)
	; wave barrier
	s_waitcnt lgkmcnt(0)
                                        ; implicit-def: $vgpr9
                                        ; implicit-def: $vgpr17
                                        ; implicit-def: $vgpr14
	s_and_saveexec_b64 s[4:5], s[0:1]
	s_cbranch_execz .LBB0_12
; %bb.11:
	v_mul_i32_i24_e32 v1, 0xffffffec, v8
	v_add3_u32 v0, 0, v23, v24
	v_add3_u32 v9, v4, v1, v23
	ds_read2_b32 v[1:2], v9 offset0:6 offset1:12
	ds_read2_b32 v[3:4], v9 offset0:18 offset1:24
	;; [unrolled: 1-line block ×4, first 2 shown]
	ds_read_b32 v0, v0
	ds_read_b32 v9, v9 offset:216
	s_waitcnt lgkmcnt(4)
	v_mov_b32_e32 v12, v4
.LBB0_12:
	s_or_b64 exec, exec, s[4:5]
	v_add_f32_e32 v4, v20, v15
	v_add_f32_e32 v29, v22, v4
	v_add_f32_e32 v4, v22, v20
	v_fmac_f32_e32 v15, -0.5, v4
	v_sub_f32_e32 v4, v19, v21
	v_mov_b32_e32 v19, v15
	v_fmac_f32_e32 v19, 0x3f5db3d7, v4
	v_fmac_f32_e32 v15, 0xbf5db3d7, v4
	v_add_f32_e32 v4, v5, v7
	v_add_f32_e32 v7, v18, v4
	v_mul_f32_e32 v18, 0x3f5db3d7, v26
	v_mul_f32_e32 v20, -0.5, v27
	v_fmac_f32_e32 v18, 0.5, v28
	v_fmac_f32_e32 v20, 0x3f5db3d7, v6
	v_add_f32_e32 v4, v7, v29
	v_add_f32_e32 v5, v19, v18
	;; [unrolled: 1-line block ×3, first 2 shown]
	v_sub_f32_e32 v7, v29, v7
	v_sub_f32_e32 v18, v19, v18
	;; [unrolled: 1-line block ×3, first 2 shown]
	s_waitcnt lgkmcnt(0)
	; wave barrier
	s_waitcnt lgkmcnt(0)
	ds_write2_b64 v25, v[4:5], v[6:7] offset1:1
	ds_write_b64 v25, v[18:19] offset:16
	s_waitcnt lgkmcnt(0)
	; wave barrier
	s_waitcnt lgkmcnt(0)
                                        ; implicit-def: $vgpr15
                                        ; implicit-def: $vgpr22
                                        ; implicit-def: $vgpr20
	s_and_saveexec_b64 s[4:5], s[0:1]
	s_cbranch_execnz .LBB0_15
; %bb.13:
	s_or_b64 exec, exec, s[4:5]
	s_and_b64 s[0:1], vcc, s[0:1]
	s_and_saveexec_b64 s[4:5], s[0:1]
	s_cbranch_execnz .LBB0_16
.LBB0_14:
	s_endpgm
.LBB0_15:
	v_add3_u32 v4, 0, v23, v24
	v_add3_u32 v7, 0, v24, v23
	ds_read2_b32 v[5:6], v7 offset0:6 offset1:12
	ds_read2_b32 v[23:24], v7 offset0:18 offset1:24
	;; [unrolled: 1-line block ×4, first 2 shown]
	ds_read_b32 v4, v4
	ds_read_b32 v15, v7 offset:216
	s_waitcnt lgkmcnt(4)
	v_mov_b32_e32 v18, v24
	v_mov_b32_e32 v7, v23
	s_or_b64 exec, exec, s[4:5]
	s_and_b64 s[0:1], vcc, s[0:1]
	s_and_saveexec_b64 s[4:5], s[0:1]
	s_cbranch_execz .LBB0_14
.LBB0_16:
	v_mul_u32_u24_e32 v23, 9, v8
	v_lshlrev_b32_e32 v35, 3, v23
	global_load_dwordx4 v[23:26], v35, s[8:9] offset:48
	global_load_dwordx4 v[27:30], v35, s[8:9] offset:32
	;; [unrolled: 1-line block ×3, first 2 shown]
	v_add_co_u32_e32 v10, vcc, s2, v10
	s_waitcnt vmcnt(2) lgkmcnt(2)
	v_mul_f32_e32 v36, v22, v26
	v_mul_f32_e32 v37, v21, v24
	;; [unrolled: 1-line block ×4, first 2 shown]
	v_fmac_f32_e32 v36, v17, v25
	v_fmac_f32_e32 v37, v16, v23
	v_fma_f32 v25, v22, v25, -v26
	v_fma_f32 v26, v21, v23, -v24
	global_load_dwordx4 v[21:24], v35, s[8:9]
	global_load_dwordx2 v[16:17], v35, s[8:9] offset:64
	s_waitcnt vmcnt(3)
	v_mul_f32_e32 v35, v14, v30
	v_mul_f32_e32 v38, v19, v28
	v_mul_f32_e32 v28, v13, v28
	v_mul_f32_e32 v30, v20, v30
	v_fma_f32 v20, v20, v29, -v35
	s_waitcnt vmcnt(2)
	v_mul_f32_e32 v35, v12, v34
	v_fmac_f32_e32 v38, v13, v27
	v_fma_f32 v13, v19, v27, -v28
	v_mul_f32_e32 v34, v18, v34
	v_fmac_f32_e32 v30, v14, v29
	v_mul_f32_e32 v14, v7, v32
	v_mul_f32_e32 v29, v3, v32
	v_fma_f32 v18, v18, v33, -v35
	v_fmac_f32_e32 v14, v3, v31
	v_fma_f32 v3, v7, v31, -v29
	v_fmac_f32_e32 v34, v12, v33
	v_sub_f32_e32 v42, v13, v26
	v_add_f32_e32 v12, v34, v30
	v_fma_f32 v40, -0.5, v12, v0
	v_sub_f32_e32 v32, v20, v25
	s_waitcnt vmcnt(1)
	v_mul_f32_e32 v19, v2, v24
	v_mul_f32_e32 v24, v6, v24
	;; [unrolled: 1-line block ×4, first 2 shown]
	s_waitcnt vmcnt(0) lgkmcnt(0)
	v_mul_f32_e32 v28, v15, v17
	v_mul_f32_e32 v17, v9, v17
	v_fma_f32 v6, v6, v23, -v19
	v_fmac_f32_e32 v24, v2, v23
	v_fmac_f32_e32 v27, v1, v21
	v_fma_f32 v1, v5, v21, -v22
	v_fmac_f32_e32 v28, v9, v16
	v_fma_f32 v2, v15, v16, -v17
	v_add_f32_e32 v5, v18, v20
	v_add_f32_e32 v7, v6, v25
	v_add_f32_e32 v15, v24, v36
	v_add_f32_e32 v9, v4, v6
	v_fma_f32 v33, -0.5, v5, v4
	v_fma_f32 v35, -0.5, v7, v4
	v_sub_f32_e32 v4, v38, v14
	v_sub_f32_e32 v5, v37, v28
	;; [unrolled: 1-line block ×4, first 2 shown]
	v_fma_f32 v41, -0.5, v15, v0
	v_add_f32_e32 v15, v14, v28
	v_sub_f32_e32 v21, v14, v38
	v_sub_f32_e32 v22, v28, v37
	;; [unrolled: 1-line block ×4, first 2 shown]
	v_add_f32_e32 v4, v4, v5
	v_add_f32_e32 v5, v7, v39
	v_fma_f32 v7, -0.5, v15, v27
	v_sub_f32_e32 v17, v6, v18
	v_sub_f32_e32 v19, v25, v20
	v_add_f32_e32 v21, v21, v22
	v_add_f32_e32 v22, v23, v29
	v_mov_b32_e32 v29, v7
	v_add_f32_e32 v17, v17, v19
	v_sub_f32_e32 v19, v3, v2
	v_fmac_f32_e32 v7, 0x3f737871, v42
	v_fmac_f32_e32 v29, 0xbf737871, v42
	v_add_f32_e32 v16, v0, v24
	v_sub_f32_e32 v0, v34, v30
	v_mov_b32_e32 v15, v35
	v_fmac_f32_e32 v7, 0xbf167918, v19
	v_fmac_f32_e32 v29, 0x3f167918, v19
	v_sub_f32_e32 v31, v18, v6
	v_sub_f32_e32 v12, v24, v36
	v_fmac_f32_e32 v35, 0xbf737871, v0
	v_fmac_f32_e32 v15, 0x3f737871, v0
	;; [unrolled: 1-line block ×4, first 2 shown]
	v_add_f32_e32 v4, v3, v2
	v_add_f32_e32 v23, v31, v32
	v_fmac_f32_e32 v35, 0x3f167918, v12
	v_fmac_f32_e32 v15, 0xbf167918, v12
	v_fma_f32 v4, -0.5, v4, v1
	v_fmac_f32_e32 v35, 0x3e9e377a, v23
	v_fmac_f32_e32 v15, 0x3e9e377a, v23
	v_sub_f32_e32 v23, v38, v37
	v_mov_b32_e32 v31, v4
	v_fmac_f32_e32 v31, 0x3f737871, v23
	v_sub_f32_e32 v32, v14, v28
	v_fmac_f32_e32 v4, 0xbf737871, v23
	v_fmac_f32_e32 v31, 0xbf167918, v32
	;; [unrolled: 1-line block ×5, first 2 shown]
	v_mov_b32_e32 v5, v33
	v_fmac_f32_e32 v5, 0xbf737871, v12
	v_fmac_f32_e32 v33, 0x3f737871, v12
	;; [unrolled: 1-line block ×4, first 2 shown]
	v_add_f32_e32 v0, v38, v37
	v_fmac_f32_e32 v5, 0x3e9e377a, v17
	v_fmac_f32_e32 v33, 0x3e9e377a, v17
	v_fma_f32 v0, -0.5, v0, v27
	v_add_f32_e32 v17, v13, v26
	v_mov_b32_e32 v12, v0
	v_fma_f32 v17, -0.5, v17, v1
	v_fmac_f32_e32 v12, 0x3f737871, v19
	v_fmac_f32_e32 v0, 0xbf737871, v19
	v_mov_b32_e32 v19, v17
	v_add_f32_e32 v1, v3, v1
	v_fmac_f32_e32 v19, 0xbf737871, v32
	v_fmac_f32_e32 v17, 0x3f737871, v32
	v_add_f32_e32 v1, v13, v1
	v_fmac_f32_e32 v19, 0xbf167918, v23
	v_fmac_f32_e32 v17, 0x3f167918, v23
	;; [unrolled: 3-line block ×3, first 2 shown]
	v_add_f32_e32 v22, v2, v1
	v_sub_f32_e32 v1, v24, v34
	v_sub_f32_e32 v2, v36, v30
	v_add_f32_e32 v1, v1, v2
	v_add_f32_e32 v2, v9, v18
	v_fmac_f32_e32 v12, 0x3f167918, v42
	v_add_f32_e32 v2, v2, v20
	v_fmac_f32_e32 v0, 0xbf167918, v42
	v_fmac_f32_e32 v12, 0x3e9e377a, v21
	v_add_f32_e32 v9, v25, v2
	v_sub_f32_e32 v2, v6, v25
	v_mul_f32_e32 v6, 0xbf4f1bbd, v19
	v_mul_f32_e32 v13, 0xbf167918, v19
	v_fmac_f32_e32 v0, 0x3e9e377a, v21
	v_fmac_f32_e32 v6, 0x3f167918, v12
	;; [unrolled: 1-line block ×3, first 2 shown]
	v_sub_f32_e32 v12, v34, v24
	v_mul_f32_e32 v24, 0x3f4f1bbd, v17
	v_mul_f32_e32 v25, 0xbf167918, v17
	v_sub_f32_e32 v3, v18, v20
	v_mov_b32_e32 v20, v41
	v_fmac_f32_e32 v24, 0x3f167918, v0
	v_fmac_f32_e32 v25, 0x3f4f1bbd, v0
	v_add_f32_e32 v0, v16, v34
	v_sub_f32_e32 v18, v30, v36
	v_fmac_f32_e32 v20, 0xbf737871, v3
	v_fmac_f32_e32 v41, 0x3f737871, v3
	v_mul_f32_e32 v21, 0x3e9e377a, v4
	v_mul_f32_e32 v23, 0xbf737871, v4
	v_mov_b32_e32 v4, v40
	v_add_f32_e32 v0, v0, v30
	v_add_f32_e32 v12, v12, v18
	v_mul_f32_e32 v19, 0xbf737871, v31
	v_fmac_f32_e32 v20, 0x3f167918, v2
	v_fmac_f32_e32 v41, 0xbf167918, v2
	;; [unrolled: 1-line block ×4, first 2 shown]
	v_add_f32_e32 v26, v36, v0
	v_add_f32_e32 v0, v14, v27
	v_mul_f32_e32 v18, 0xbe9e377a, v31
	v_fmac_f32_e32 v19, 0xbe9e377a, v29
	v_fmac_f32_e32 v20, 0x3e9e377a, v12
	;; [unrolled: 1-line block ×6, first 2 shown]
	v_add_f32_e32 v0, v38, v0
	v_fmac_f32_e32 v18, 0x3f737871, v29
	v_fmac_f32_e32 v21, 0x3f737871, v7
	;; [unrolled: 1-line block ×4, first 2 shown]
	v_sub_f32_e32 v1, v5, v6
	v_add_f32_e32 v0, v37, v0
	v_add_f32_e32 v5, v5, v6
	v_sub_f32_e32 v2, v20, v19
	v_add_f32_e32 v12, v20, v19
	v_sub_f32_e32 v6, v41, v23
	;; [unrolled: 2-line block ×3, first 2 shown]
	v_add_f32_e32 v23, v9, v22
	v_mov_b32_e32 v9, 0
	v_add_f32_e32 v27, v28, v0
	v_sub_f32_e32 v3, v15, v18
	v_sub_f32_e32 v0, v4, v13
	v_add_f32_e32 v4, v4, v13
	v_sub_f32_e32 v7, v35, v21
	v_add_f32_e32 v13, v15, v18
	;; [unrolled: 2-line block ×3, first 2 shown]
	v_add_f32_e32 v21, v33, v24
	v_mov_b32_e32 v24, s3
	v_lshlrev_b64 v[8:9], 3, v[8:9]
	v_addc_co_u32_e32 v11, vcc, v24, v11, vcc
	v_add_co_u32_e32 v8, vcc, v10, v8
	v_add_f32_e32 v22, v26, v27
	v_addc_co_u32_e32 v9, vcc, v11, v9, vcc
	v_sub_f32_e32 v14, v40, v25
	v_sub_f32_e32 v18, v26, v27
	v_add_f32_e32 v20, v40, v25
	global_store_dwordx2 v[8:9], v[22:23], off
	global_store_dwordx2 v[8:9], v[20:21], off offset:48
	global_store_dwordx2 v[8:9], v[16:17], off offset:96
	;; [unrolled: 1-line block ×9, first 2 shown]
	s_endpgm
	.section	.rodata,"a",@progbits
	.p2align	6, 0x0
	.amdhsa_kernel fft_rtc_back_len60_factors_6_10_wgs_60_tpt_10_halfLds_sp_ip_CI_unitstride_sbrr_dirReg
		.amdhsa_group_segment_fixed_size 0
		.amdhsa_private_segment_fixed_size 0
		.amdhsa_kernarg_size 88
		.amdhsa_user_sgpr_count 6
		.amdhsa_user_sgpr_private_segment_buffer 1
		.amdhsa_user_sgpr_dispatch_ptr 0
		.amdhsa_user_sgpr_queue_ptr 0
		.amdhsa_user_sgpr_kernarg_segment_ptr 1
		.amdhsa_user_sgpr_dispatch_id 0
		.amdhsa_user_sgpr_flat_scratch_init 0
		.amdhsa_user_sgpr_private_segment_size 0
		.amdhsa_uses_dynamic_stack 0
		.amdhsa_system_sgpr_private_segment_wavefront_offset 0
		.amdhsa_system_sgpr_workgroup_id_x 1
		.amdhsa_system_sgpr_workgroup_id_y 0
		.amdhsa_system_sgpr_workgroup_id_z 0
		.amdhsa_system_sgpr_workgroup_info 0
		.amdhsa_system_vgpr_workitem_id 0
		.amdhsa_next_free_vgpr 43
		.amdhsa_next_free_sgpr 22
		.amdhsa_reserve_vcc 1
		.amdhsa_reserve_flat_scratch 0
		.amdhsa_float_round_mode_32 0
		.amdhsa_float_round_mode_16_64 0
		.amdhsa_float_denorm_mode_32 3
		.amdhsa_float_denorm_mode_16_64 3
		.amdhsa_dx10_clamp 1
		.amdhsa_ieee_mode 1
		.amdhsa_fp16_overflow 0
		.amdhsa_exception_fp_ieee_invalid_op 0
		.amdhsa_exception_fp_denorm_src 0
		.amdhsa_exception_fp_ieee_div_zero 0
		.amdhsa_exception_fp_ieee_overflow 0
		.amdhsa_exception_fp_ieee_underflow 0
		.amdhsa_exception_fp_ieee_inexact 0
		.amdhsa_exception_int_div_zero 0
	.end_amdhsa_kernel
	.text
.Lfunc_end0:
	.size	fft_rtc_back_len60_factors_6_10_wgs_60_tpt_10_halfLds_sp_ip_CI_unitstride_sbrr_dirReg, .Lfunc_end0-fft_rtc_back_len60_factors_6_10_wgs_60_tpt_10_halfLds_sp_ip_CI_unitstride_sbrr_dirReg
                                        ; -- End function
	.section	.AMDGPU.csdata,"",@progbits
; Kernel info:
; codeLenInByte = 3124
; NumSgprs: 26
; NumVgprs: 43
; ScratchSize: 0
; MemoryBound: 0
; FloatMode: 240
; IeeeMode: 1
; LDSByteSize: 0 bytes/workgroup (compile time only)
; SGPRBlocks: 3
; VGPRBlocks: 10
; NumSGPRsForWavesPerEU: 26
; NumVGPRsForWavesPerEU: 43
; Occupancy: 5
; WaveLimiterHint : 1
; COMPUTE_PGM_RSRC2:SCRATCH_EN: 0
; COMPUTE_PGM_RSRC2:USER_SGPR: 6
; COMPUTE_PGM_RSRC2:TRAP_HANDLER: 0
; COMPUTE_PGM_RSRC2:TGID_X_EN: 1
; COMPUTE_PGM_RSRC2:TGID_Y_EN: 0
; COMPUTE_PGM_RSRC2:TGID_Z_EN: 0
; COMPUTE_PGM_RSRC2:TIDIG_COMP_CNT: 0
	.type	__hip_cuid_44f1149a6ba660ce,@object ; @__hip_cuid_44f1149a6ba660ce
	.section	.bss,"aw",@nobits
	.globl	__hip_cuid_44f1149a6ba660ce
__hip_cuid_44f1149a6ba660ce:
	.byte	0                               ; 0x0
	.size	__hip_cuid_44f1149a6ba660ce, 1

	.ident	"AMD clang version 19.0.0git (https://github.com/RadeonOpenCompute/llvm-project roc-6.4.0 25133 c7fe45cf4b819c5991fe208aaa96edf142730f1d)"
	.section	".note.GNU-stack","",@progbits
	.addrsig
	.addrsig_sym __hip_cuid_44f1149a6ba660ce
	.amdgpu_metadata
---
amdhsa.kernels:
  - .args:
      - .actual_access:  read_only
        .address_space:  global
        .offset:         0
        .size:           8
        .value_kind:     global_buffer
      - .offset:         8
        .size:           8
        .value_kind:     by_value
      - .actual_access:  read_only
        .address_space:  global
        .offset:         16
        .size:           8
        .value_kind:     global_buffer
      - .actual_access:  read_only
        .address_space:  global
        .offset:         24
        .size:           8
        .value_kind:     global_buffer
      - .offset:         32
        .size:           8
        .value_kind:     by_value
      - .actual_access:  read_only
        .address_space:  global
        .offset:         40
        .size:           8
        .value_kind:     global_buffer
      - .actual_access:  read_only
        .address_space:  global
        .offset:         48
        .size:           8
        .value_kind:     global_buffer
      - .offset:         56
        .size:           4
        .value_kind:     by_value
      - .actual_access:  read_only
        .address_space:  global
        .offset:         64
        .size:           8
        .value_kind:     global_buffer
      - .actual_access:  read_only
        .address_space:  global
        .offset:         72
        .size:           8
        .value_kind:     global_buffer
      - .address_space:  global
        .offset:         80
        .size:           8
        .value_kind:     global_buffer
    .group_segment_fixed_size: 0
    .kernarg_segment_align: 8
    .kernarg_segment_size: 88
    .language:       OpenCL C
    .language_version:
      - 2
      - 0
    .max_flat_workgroup_size: 60
    .name:           fft_rtc_back_len60_factors_6_10_wgs_60_tpt_10_halfLds_sp_ip_CI_unitstride_sbrr_dirReg
    .private_segment_fixed_size: 0
    .sgpr_count:     26
    .sgpr_spill_count: 0
    .symbol:         fft_rtc_back_len60_factors_6_10_wgs_60_tpt_10_halfLds_sp_ip_CI_unitstride_sbrr_dirReg.kd
    .uniform_work_group_size: 1
    .uses_dynamic_stack: false
    .vgpr_count:     43
    .vgpr_spill_count: 0
    .wavefront_size: 64
amdhsa.target:   amdgcn-amd-amdhsa--gfx906
amdhsa.version:
  - 1
  - 2
...

	.end_amdgpu_metadata
